;; amdgpu-corpus repo=ROCm/rocFFT kind=compiled arch=gfx950 opt=O3
	.text
	.amdgcn_target "amdgcn-amd-amdhsa--gfx950"
	.amdhsa_code_object_version 6
	.protected	fft_rtc_back_len144_factors_6_6_4_wgs_120_tpt_12_halfLds_half_op_CI_CI_unitstride_sbrr_C2R_dirReg ; -- Begin function fft_rtc_back_len144_factors_6_6_4_wgs_120_tpt_12_halfLds_half_op_CI_CI_unitstride_sbrr_C2R_dirReg
	.globl	fft_rtc_back_len144_factors_6_6_4_wgs_120_tpt_12_halfLds_half_op_CI_CI_unitstride_sbrr_C2R_dirReg
	.p2align	8
	.type	fft_rtc_back_len144_factors_6_6_4_wgs_120_tpt_12_halfLds_half_op_CI_CI_unitstride_sbrr_C2R_dirReg,@function
fft_rtc_back_len144_factors_6_6_4_wgs_120_tpt_12_halfLds_half_op_CI_CI_unitstride_sbrr_C2R_dirReg: ; @fft_rtc_back_len144_factors_6_6_4_wgs_120_tpt_12_halfLds_half_op_CI_CI_unitstride_sbrr_C2R_dirReg
; %bb.0:
	s_load_dwordx4 s[4:7], s[0:1], 0x58
	s_load_dwordx4 s[8:11], s[0:1], 0x0
	;; [unrolled: 1-line block ×3, first 2 shown]
	v_mul_u32_u24_e32 v1, 0x1556, v0
	v_lshrrev_b32_e32 v2, 16, v1
	v_mad_u64_u32 v[6:7], s[2:3], s2, 10, v[2:3]
	v_mov_b32_e32 v10, 0
	v_mov_b32_e32 v7, v10
	s_waitcnt lgkmcnt(0)
	v_cmp_lt_u64_e64 s[2:3], s[10:11], 2
	v_mov_b64_e32 v[8:9], 0
	s_and_b64 vcc, exec, s[2:3]
	v_mov_b64_e32 v[2:3], v[8:9]
	v_mov_b64_e32 v[4:5], v[6:7]
	s_cbranch_vccnz .LBB0_8
; %bb.1:
	s_load_dwordx2 s[2:3], s[0:1], 0x10
	s_add_u32 s16, s14, 8
	s_addc_u32 s17, s15, 0
	s_add_u32 s18, s12, 8
	s_addc_u32 s19, s13, 0
	s_waitcnt lgkmcnt(0)
	s_add_u32 s20, s2, 8
	v_mov_b64_e32 v[8:9], 0
	s_addc_u32 s21, s3, 0
	s_mov_b64 s[22:23], 1
	v_mov_b64_e32 v[2:3], v[8:9]
	v_mov_b64_e32 v[12:13], v[6:7]
.LBB0_2:                                ; =>This Inner Loop Header: Depth=1
	s_load_dwordx2 s[24:25], s[20:21], 0x0
                                        ; implicit-def: $vgpr4_vgpr5
	s_waitcnt lgkmcnt(0)
	v_or_b32_e32 v11, s25, v13
	v_cmp_ne_u64_e32 vcc, 0, v[10:11]
	s_and_saveexec_b64 s[2:3], vcc
	s_xor_b64 s[26:27], exec, s[2:3]
	s_cbranch_execz .LBB0_4
; %bb.3:                                ;   in Loop: Header=BB0_2 Depth=1
	v_cvt_f32_u32_e32 v1, s24
	v_cvt_f32_u32_e32 v4, s25
	s_sub_u32 s2, 0, s24
	s_subb_u32 s3, 0, s25
	v_fmac_f32_e32 v1, 0x4f800000, v4
	v_rcp_f32_e32 v1, v1
	s_nop 0
	v_mul_f32_e32 v1, 0x5f7ffffc, v1
	v_mul_f32_e32 v4, 0x2f800000, v1
	v_trunc_f32_e32 v4, v4
	v_fmac_f32_e32 v1, 0xcf800000, v4
	v_cvt_u32_f32_e32 v7, v4
	v_cvt_u32_f32_e32 v1, v1
	v_mul_lo_u32 v4, s2, v7
	v_mul_hi_u32 v11, s2, v1
	v_mul_lo_u32 v5, s3, v1
	v_add_u32_e32 v11, v11, v4
	v_mul_lo_u32 v16, s2, v1
	v_add_u32_e32 v11, v11, v5
	v_mul_hi_u32 v4, v1, v16
	v_mul_hi_u32 v15, v1, v11
	v_mul_lo_u32 v14, v1, v11
	v_mov_b32_e32 v5, v10
	v_lshl_add_u64 v[4:5], v[4:5], 0, v[14:15]
	v_mul_hi_u32 v15, v7, v16
	v_mul_lo_u32 v16, v7, v16
	v_add_co_u32_e32 v4, vcc, v4, v16
	v_mul_hi_u32 v14, v7, v11
	s_nop 0
	v_addc_co_u32_e32 v4, vcc, v5, v15, vcc
	v_mov_b32_e32 v5, v10
	s_nop 0
	v_addc_co_u32_e32 v15, vcc, 0, v14, vcc
	v_mul_lo_u32 v14, v7, v11
	v_lshl_add_u64 v[4:5], v[4:5], 0, v[14:15]
	v_add_co_u32_e32 v1, vcc, v1, v4
	v_mul_lo_u32 v14, s2, v1
	s_nop 0
	v_addc_co_u32_e32 v7, vcc, v7, v5, vcc
	v_mul_lo_u32 v4, s2, v7
	v_mul_hi_u32 v5, s2, v1
	v_add_u32_e32 v4, v5, v4
	v_mul_lo_u32 v5, s3, v1
	v_add_u32_e32 v11, v4, v5
	v_mul_hi_u32 v17, v7, v14
	v_mul_lo_u32 v18, v7, v14
	v_mul_hi_u32 v5, v1, v11
	v_mul_lo_u32 v4, v1, v11
	v_mul_hi_u32 v14, v1, v14
	v_mov_b32_e32 v15, v10
	v_lshl_add_u64 v[4:5], v[14:15], 0, v[4:5]
	v_add_co_u32_e32 v4, vcc, v4, v18
	v_mul_hi_u32 v16, v7, v11
	s_nop 0
	v_addc_co_u32_e32 v4, vcc, v5, v17, vcc
	v_mul_lo_u32 v14, v7, v11
	s_nop 0
	v_addc_co_u32_e32 v15, vcc, 0, v16, vcc
	v_mov_b32_e32 v5, v10
	v_lshl_add_u64 v[4:5], v[4:5], 0, v[14:15]
	v_add_co_u32_e32 v1, vcc, v1, v4
	v_mul_hi_u32 v14, v12, v1
	s_nop 0
	v_addc_co_u32_e32 v7, vcc, v7, v5, vcc
	v_mad_u64_u32 v[4:5], s[2:3], v12, v7, 0
	v_mov_b32_e32 v15, v10
	v_lshl_add_u64 v[4:5], v[14:15], 0, v[4:5]
	v_mad_u64_u32 v[16:17], s[2:3], v13, v1, 0
	v_add_co_u32_e32 v1, vcc, v4, v16
	v_mad_u64_u32 v[14:15], s[2:3], v13, v7, 0
	s_nop 0
	v_addc_co_u32_e32 v4, vcc, v5, v17, vcc
	v_mov_b32_e32 v5, v10
	s_nop 0
	v_addc_co_u32_e32 v15, vcc, 0, v15, vcc
	v_lshl_add_u64 v[4:5], v[4:5], 0, v[14:15]
	v_mul_lo_u32 v1, s25, v4
	v_mul_lo_u32 v7, s24, v5
	v_mad_u64_u32 v[14:15], s[2:3], s24, v4, 0
	v_add3_u32 v1, v15, v7, v1
	v_sub_u32_e32 v7, v13, v1
	v_mov_b32_e32 v11, s25
	v_sub_co_u32_e32 v18, vcc, v12, v14
	v_lshl_add_u64 v[16:17], v[4:5], 0, 1
	s_nop 0
	v_subb_co_u32_e64 v7, s[2:3], v7, v11, vcc
	v_subrev_co_u32_e64 v11, s[2:3], s24, v18
	v_subb_co_u32_e32 v1, vcc, v13, v1, vcc
	s_nop 0
	v_subbrev_co_u32_e64 v7, s[2:3], 0, v7, s[2:3]
	v_cmp_le_u32_e64 s[2:3], s25, v7
	v_cmp_le_u32_e32 vcc, s25, v1
	s_nop 0
	v_cndmask_b32_e64 v14, 0, -1, s[2:3]
	v_cmp_le_u32_e64 s[2:3], s24, v11
	s_nop 1
	v_cndmask_b32_e64 v11, 0, -1, s[2:3]
	v_cmp_eq_u32_e64 s[2:3], s25, v7
	s_nop 1
	v_cndmask_b32_e64 v7, v14, v11, s[2:3]
	v_lshl_add_u64 v[14:15], v[4:5], 0, 2
	v_cmp_ne_u32_e64 s[2:3], 0, v7
	v_cndmask_b32_e64 v11, 0, -1, vcc
	v_cmp_le_u32_e32 vcc, s24, v18
	v_cndmask_b32_e64 v7, v17, v15, s[2:3]
	s_nop 0
	v_cndmask_b32_e64 v15, 0, -1, vcc
	v_cmp_eq_u32_e32 vcc, s25, v1
	s_nop 1
	v_cndmask_b32_e32 v1, v11, v15, vcc
	v_cmp_ne_u32_e32 vcc, 0, v1
	v_cndmask_b32_e64 v1, v16, v14, s[2:3]
	s_nop 0
	v_cndmask_b32_e32 v5, v5, v7, vcc
	v_cndmask_b32_e32 v4, v4, v1, vcc
.LBB0_4:                                ;   in Loop: Header=BB0_2 Depth=1
	s_andn2_saveexec_b64 s[2:3], s[26:27]
	s_cbranch_execz .LBB0_6
; %bb.5:                                ;   in Loop: Header=BB0_2 Depth=1
	v_cvt_f32_u32_e32 v1, s24
	s_sub_i32 s26, 0, s24
	v_rcp_iflag_f32_e32 v1, v1
	s_nop 0
	v_mul_f32_e32 v1, 0x4f7ffffe, v1
	v_cvt_u32_f32_e32 v1, v1
	v_mul_lo_u32 v4, s26, v1
	v_mul_hi_u32 v4, v1, v4
	v_add_u32_e32 v1, v1, v4
	v_mul_hi_u32 v1, v12, v1
	v_mul_lo_u32 v4, v1, s24
	v_sub_u32_e32 v4, v12, v4
	v_add_u32_e32 v5, 1, v1
	v_subrev_u32_e32 v7, s24, v4
	v_cmp_le_u32_e32 vcc, s24, v4
	s_nop 1
	v_cndmask_b32_e32 v4, v4, v7, vcc
	v_cndmask_b32_e32 v1, v1, v5, vcc
	v_add_u32_e32 v5, 1, v1
	v_cmp_le_u32_e32 vcc, s24, v4
	s_nop 1
	v_cndmask_b32_e32 v4, v1, v5, vcc
	v_mov_b32_e32 v5, v10
.LBB0_6:                                ;   in Loop: Header=BB0_2 Depth=1
	s_or_b64 exec, exec, s[2:3]
	v_mad_u64_u32 v[14:15], s[2:3], v4, s24, 0
	s_load_dwordx2 s[2:3], s[18:19], 0x0
	s_add_u32 s22, s22, 1
	v_mul_lo_u32 v1, v5, s24
	v_mul_lo_u32 v7, v4, s25
	s_load_dwordx2 s[24:25], s[16:17], 0x0
	s_addc_u32 s23, s23, 0
	v_add3_u32 v1, v15, v7, v1
	v_sub_co_u32_e32 v7, vcc, v12, v14
	s_add_u32 s16, s16, 8
	s_nop 0
	v_subb_co_u32_e32 v1, vcc, v13, v1, vcc
	s_addc_u32 s17, s17, 0
	s_waitcnt lgkmcnt(0)
	v_mul_lo_u32 v11, s2, v1
	v_mul_lo_u32 v12, s3, v7
	v_mad_u64_u32 v[8:9], s[2:3], s2, v7, v[8:9]
	s_add_u32 s18, s18, 8
	v_add3_u32 v9, v12, v9, v11
	s_addc_u32 s19, s19, 0
	v_mov_b64_e32 v[12:13], s[10:11]
	v_mul_lo_u32 v1, s24, v1
	v_mul_lo_u32 v11, s25, v7
	v_mad_u64_u32 v[2:3], s[2:3], s24, v7, v[2:3]
	s_add_u32 s20, s20, 8
	v_cmp_ge_u64_e32 vcc, s[22:23], v[12:13]
	v_add3_u32 v3, v11, v3, v1
	s_addc_u32 s21, s21, 0
	s_cbranch_vccnz .LBB0_8
; %bb.7:                                ;   in Loop: Header=BB0_2 Depth=1
	v_mov_b64_e32 v[12:13], v[4:5]
	s_branch .LBB0_2
.LBB0_8:
	s_load_dwordx2 s[0:1], s[0:1], 0x28
	s_lshl_b64 s[16:17], s[10:11], 3
	s_mov_b32 s10, 0xcccccccd
	v_mul_hi_u32 v1, v6, s10
	v_lshrrev_b32_e32 v1, 3, v1
	s_add_u32 s2, s14, s16
	v_mul_lo_u32 v1, v1, 10
	s_addc_u32 s3, s15, s17
	v_sub_u32_e32 v1, v6, v1
	s_waitcnt lgkmcnt(0)
	v_cmp_gt_u64_e32 vcc, s[0:1], v[4:5]
	v_cmp_le_u64_e64 s[0:1], s[0:1], v[4:5]
                                        ; implicit-def: $vgpr6
	s_and_saveexec_b64 s[10:11], s[0:1]
	s_xor_b64 s[0:1], exec, s[10:11]
; %bb.9:
	s_mov_b32 s10, 0x15555556
	v_mul_hi_u32 v6, v0, s10
	v_mul_u32_u24_e32 v6, 12, v6
	v_sub_u32_e32 v6, v0, v6
                                        ; implicit-def: $vgpr0
                                        ; implicit-def: $vgpr8_vgpr9
; %bb.10:
	s_or_saveexec_b64 s[10:11], s[0:1]
	s_load_dwordx2 s[2:3], s[2:3], 0x0
	v_mul_u32_u24_e32 v7, 0x91, v1
	v_lshlrev_b32_e32 v10, 2, v7
	s_xor_b64 exec, exec, s[10:11]
	s_cbranch_execz .LBB0_14
; %bb.11:
	s_add_u32 s0, s12, s16
	s_addc_u32 s1, s13, s17
	s_load_dwordx2 s[0:1], s[0:1], 0x0
	s_mov_b32 s12, 0x15555556
	s_waitcnt lgkmcnt(0)
	v_mul_lo_u32 v1, s1, v4
	v_mul_lo_u32 v6, s0, v5
	v_mad_u64_u32 v[12:13], s[0:1], s0, v4, 0
	v_add3_u32 v13, v13, v6, v1
	v_mul_hi_u32 v1, v0, s12
	v_mul_u32_u24_e32 v1, 12, v1
	v_sub_u32_e32 v6, v0, v1
	v_lshl_add_u64 v[0:1], v[12:13], 2, s[4:5]
	v_lshl_add_u64 v[0:1], v[8:9], 2, v[0:1]
	v_lshlrev_b32_e32 v8, 2, v6
	v_mov_b32_e32 v9, 0
	v_lshl_add_u64 v[12:13], v[0:1], 0, v[8:9]
	global_load_dword v9, v[12:13], off
	global_load_dword v11, v[12:13], off offset:48
	global_load_dword v14, v[12:13], off offset:96
	;; [unrolled: 1-line block ×11, first 2 shown]
	v_add3_u32 v8, 0, v10, v8
	v_cmp_eq_u32_e64 s[0:1], 11, v6
	s_waitcnt vmcnt(10)
	ds_write2_b32 v8, v9, v11 offset1:12
	s_waitcnt vmcnt(8)
	ds_write2_b32 v8, v14, v15 offset0:24 offset1:36
	s_waitcnt vmcnt(6)
	ds_write2_b32 v8, v16, v17 offset0:48 offset1:60
	;; [unrolled: 2-line block ×5, first 2 shown]
	s_and_saveexec_b64 s[4:5], s[0:1]
	s_cbranch_execz .LBB0_13
; %bb.12:
	global_load_dword v0, v[0:1], off offset:576
	v_mov_b32_e32 v6, 11
	s_waitcnt vmcnt(0)
	ds_write_b32 v8, v0 offset:532
.LBB0_13:
	s_or_b64 exec, exec, s[4:5]
.LBB0_14:
	s_or_b64 exec, exec, s[10:11]
	v_lshl_add_u32 v8, v7, 2, 0
	v_lshlrev_b32_e32 v12, 2, v6
	v_add_u32_e32 v9, v8, v12
	s_waitcnt lgkmcnt(0)
	s_barrier
	v_sub_u32_e32 v11, v8, v12
	ds_read_u16 v15, v9
	ds_read_u16 v16, v11 offset:576
	v_cmp_ne_u32_e64 s[0:1], 0, v6
                                        ; implicit-def: $vgpr0_vgpr1
	s_waitcnt lgkmcnt(0)
	v_add_f16_e32 v13, v16, v15
	v_sub_f16_e32 v14, v15, v16
	s_and_saveexec_b64 s[4:5], s[0:1]
	s_xor_b64 s[0:1], exec, s[4:5]
	s_cbranch_execz .LBB0_16
; %bb.15:
	v_mov_b32_e32 v7, 0
	v_lshl_add_u64 v[0:1], v[6:7], 2, s[8:9]
	global_load_dword v0, v[0:1], off offset:552
	ds_read_u16 v1, v11 offset:578
	ds_read_u16 v13, v9 offset:2
	v_add_f16_e32 v14, v16, v15
	v_sub_f16_e32 v15, v15, v16
	s_waitcnt lgkmcnt(0)
	v_add_f16_e32 v16, v1, v13
	v_sub_f16_e32 v1, v13, v1
	s_waitcnt vmcnt(0)
	v_lshrrev_b32_e32 v13, 16, v0
	v_fma_f16 v17, v15, v13, v14
	v_fma_f16 v18, v16, v13, v1
	v_fma_f16 v19, -v15, v13, v14
	v_fma_f16 v1, v16, v13, -v1
	v_fma_f16 v13, -v0, v16, v17
	v_fma_f16 v14, v15, v0, v18
	v_fma_f16 v16, v0, v16, v19
	;; [unrolled: 1-line block ×3, first 2 shown]
	v_pack_b32_f16 v0, v16, v0
	ds_write_b32 v11, v0 offset:576
	v_mov_b64_e32 v[0:1], v[6:7]
.LBB0_16:
	s_andn2_saveexec_b64 s[0:1], s[0:1]
	s_cbranch_execz .LBB0_18
; %bb.17:
	ds_read_b32 v0, v8 offset:288
	s_mov_b32 s4, 0xc0004000
	s_waitcnt lgkmcnt(0)
	v_pk_mul_f16 v0, v0, s4
	ds_write_b32 v8, v0 offset:288
	v_mov_b64_e32 v[0:1], 0
.LBB0_18:
	s_or_b64 exec, exec, s[0:1]
	s_add_u32 s0, s8, 0x228
	s_addc_u32 s1, s9, 0
	v_lshl_add_u64 v[0:1], v[0:1], 2, s[0:1]
	global_load_dword v7, v[0:1], off offset:48
	global_load_dword v15, v[0:1], off offset:96
	;; [unrolled: 1-line block ×4, first 2 shown]
	s_mov_b32 s0, 0x5040100
	v_perm_b32 v13, v14, v13, s0
	ds_write_b32 v9, v13
	ds_read_b32 v13, v9 offset:48
	ds_read_b32 v14, v11 offset:528
	global_load_dword v0, v[0:1], off offset:240
	s_movk_i32 s4, 0x3aee
	s_mov_b32 s0, 0xb8003800
	s_mov_b32 s1, 0xffff
	s_waitcnt lgkmcnt(0)
	v_add_f16_e32 v1, v13, v14
	v_add_f16_sdwa v18, v14, v13 dst_sel:DWORD dst_unused:UNUSED_PAD src0_sel:WORD_1 src1_sel:WORD_1
	v_sub_f16_e32 v19, v13, v14
	v_sub_f16_sdwa v13, v13, v14 dst_sel:DWORD dst_unused:UNUSED_PAD src0_sel:WORD_1 src1_sel:WORD_1
	s_waitcnt vmcnt(4)
	v_lshrrev_b32_e32 v14, 16, v7
	v_fma_f16 v20, v19, v14, v1
	v_fma_f16 v21, v18, v14, v13
	v_fma_f16 v1, -v19, v14, v1
	v_fma_f16 v13, v18, v14, -v13
	v_fma_f16 v14, -v7, v18, v20
	v_fma_f16 v20, v19, v7, v21
	v_fma_f16 v1, v7, v18, v1
	v_fma_f16 v7, v19, v7, v13
	v_pack_b32_f16 v13, v14, v20
	v_pack_b32_f16 v1, v1, v7
	ds_write_b32 v9, v13 offset:48
	ds_write_b32 v11, v1 offset:528
	ds_read_b32 v1, v9 offset:96
	ds_read_b32 v7, v11 offset:480
	s_waitcnt vmcnt(3)
	v_lshrrev_b32_e32 v13, 16, v15
	s_waitcnt lgkmcnt(0)
	v_add_f16_e32 v14, v1, v7
	v_add_f16_sdwa v18, v7, v1 dst_sel:DWORD dst_unused:UNUSED_PAD src0_sel:WORD_1 src1_sel:WORD_1
	v_sub_f16_e32 v19, v1, v7
	v_sub_f16_sdwa v1, v1, v7 dst_sel:DWORD dst_unused:UNUSED_PAD src0_sel:WORD_1 src1_sel:WORD_1
	v_fma_f16 v7, v19, v13, v14
	v_fma_f16 v20, v18, v13, v1
	v_fma_f16 v14, -v19, v13, v14
	v_fma_f16 v1, v18, v13, -v1
	v_fma_f16 v7, -v15, v18, v7
	v_fma_f16 v13, v19, v15, v20
	v_fma_f16 v14, v15, v18, v14
	v_fma_f16 v1, v19, v15, v1
	v_pack_b32_f16 v7, v7, v13
	v_pack_b32_f16 v1, v14, v1
	ds_write_b32 v9, v7 offset:96
	ds_write_b32 v11, v1 offset:480
	ds_read_b32 v1, v9 offset:144
	ds_read_b32 v7, v11 offset:432
	s_waitcnt vmcnt(2)
	v_lshrrev_b32_e32 v13, 16, v16
	s_waitcnt lgkmcnt(0)
	v_add_f16_e32 v14, v1, v7
	v_add_f16_sdwa v15, v7, v1 dst_sel:DWORD dst_unused:UNUSED_PAD src0_sel:WORD_1 src1_sel:WORD_1
	v_sub_f16_e32 v18, v1, v7
	v_sub_f16_sdwa v1, v1, v7 dst_sel:DWORD dst_unused:UNUSED_PAD src0_sel:WORD_1 src1_sel:WORD_1
	v_fma_f16 v7, v18, v13, v14
	v_fma_f16 v19, v15, v13, v1
	v_fma_f16 v14, -v18, v13, v14
	v_fma_f16 v1, v15, v13, -v1
	v_fma_f16 v7, -v16, v15, v7
	v_fma_f16 v13, v18, v16, v19
	v_fma_f16 v14, v16, v15, v14
	v_fma_f16 v1, v18, v16, v1
	v_pack_b32_f16 v7, v7, v13
	v_pack_b32_f16 v1, v14, v1
	ds_write_b32 v9, v7 offset:144
	ds_write_b32 v11, v1 offset:432
	ds_read_b32 v1, v9 offset:192
	ds_read_b32 v7, v11 offset:384
	s_waitcnt vmcnt(1)
	v_lshrrev_b32_e32 v13, 16, v17
	s_waitcnt lgkmcnt(0)
	v_add_f16_e32 v14, v1, v7
	v_add_f16_sdwa v15, v7, v1 dst_sel:DWORD dst_unused:UNUSED_PAD src0_sel:WORD_1 src1_sel:WORD_1
	v_sub_f16_e32 v16, v1, v7
	v_sub_f16_sdwa v1, v1, v7 dst_sel:DWORD dst_unused:UNUSED_PAD src0_sel:WORD_1 src1_sel:WORD_1
	v_fma_f16 v7, v16, v13, v14
	v_fma_f16 v18, v15, v13, v1
	v_fma_f16 v14, -v16, v13, v14
	v_fma_f16 v1, v15, v13, -v1
	v_fma_f16 v7, -v17, v15, v7
	v_fma_f16 v13, v16, v17, v18
	v_fma_f16 v14, v17, v15, v14
	;; [unrolled: 1-line block ×3, first 2 shown]
	v_pack_b32_f16 v7, v7, v13
	v_pack_b32_f16 v1, v14, v1
	ds_write_b32 v9, v7 offset:192
	ds_write_b32 v11, v1 offset:384
	ds_read_b32 v1, v9 offset:240
	ds_read_b32 v13, v11 offset:336
	v_add3_u32 v7, 0, v12, v10
	s_waitcnt vmcnt(0)
	v_lshrrev_b32_e32 v12, 16, v0
	v_mad_u32_u24 v20, v6, 20, v7
	s_waitcnt lgkmcnt(0)
	v_add_f16_e32 v14, v1, v13
	v_add_f16_sdwa v15, v13, v1 dst_sel:DWORD dst_unused:UNUSED_PAD src0_sel:WORD_1 src1_sel:WORD_1
	v_sub_f16_e32 v16, v1, v13
	v_sub_f16_sdwa v1, v1, v13 dst_sel:DWORD dst_unused:UNUSED_PAD src0_sel:WORD_1 src1_sel:WORD_1
	v_fma_f16 v13, v16, v12, v14
	v_fma_f16 v17, v15, v12, v1
	v_fma_f16 v14, -v16, v12, v14
	v_fma_f16 v1, v15, v12, -v1
	v_fma_f16 v12, -v0, v15, v13
	v_fma_f16 v13, v16, v0, v17
	v_fma_f16 v14, v0, v15, v14
	;; [unrolled: 1-line block ×3, first 2 shown]
	v_pack_b32_f16 v1, v12, v13
	v_pack_b32_f16 v0, v14, v0
	ds_write_b32 v9, v1 offset:240
	ds_write_b32 v11, v0 offset:336
	s_waitcnt lgkmcnt(0)
	s_barrier
	s_barrier
	ds_read2_b32 v[0:1], v7 offset0:12 offset1:24
	ds_read2_b32 v[12:13], v7 offset0:36 offset1:48
	ds_read_b32 v11, v9
	ds_read2_b32 v[14:15], v7 offset0:60 offset1:72
	ds_read2_b32 v[16:17], v7 offset0:84 offset1:96
	;; [unrolled: 1-line block ×3, first 2 shown]
	ds_read_b32 v21, v7 offset:528
	s_waitcnt lgkmcnt(4)
	v_pk_add_f16 v22, v11, v13
	s_waitcnt lgkmcnt(3)
	v_pk_add_f16 v23, v1, v15
	;; [unrolled: 2-line block ×4, first 2 shown]
	v_pk_add_f16 v13, v13, v17 neg_lo:[0,1] neg_hi:[0,1]
	v_pk_add_f16 v15, v15, v19 neg_lo:[0,1] neg_hi:[0,1]
	v_pk_fma_f16 v11, v24, 0.5, v11 op_sel_hi:[1,0,1] neg_lo:[1,0,0] neg_hi:[1,0,0]
	v_pk_fma_f16 v1, v25, 0.5, v1 op_sel_hi:[1,0,1] neg_lo:[1,0,0] neg_hi:[1,0,0]
	v_pk_add_f16 v19, v23, v19
	v_pk_fma_f16 v23, v13, s4, v11 op_sel:[0,0,1] op_sel_hi:[1,0,0] neg_lo:[1,0,0] neg_hi:[1,0,0]
	v_pk_fma_f16 v11, v13, s4, v11 op_sel:[0,0,1] op_sel_hi:[1,0,0]
	v_pk_fma_f16 v13, v15, s4, v1 op_sel:[0,0,1] op_sel_hi:[1,0,0]
	v_pk_fma_f16 v1, v15, s4, v1 op_sel:[0,0,1] op_sel_hi:[1,0,0] neg_lo:[1,0,0] neg_hi:[1,0,0]
	v_mul_f16_e32 v24, 0xbaee, v13
	v_pk_mul_f16 v25, v1, s4 op_sel_hi:[1,0]
	v_lshrrev_b32_e32 v15, 16, v1
	v_pk_fma_f16 v26, v13, s0, v25 op_sel:[0,0,1] op_sel_hi:[1,1,0]
	v_pk_fma_f16 v25, v13, s0, v25 op_sel:[0,0,1] op_sel_hi:[1,1,0] neg_lo:[0,0,1] neg_hi:[0,0,1]
	v_lshrrev_b32_e32 v13, 16, v13
	v_mul_f16_e32 v1, -0.5, v1
	v_pk_add_f16 v17, v22, v17
	v_fma_f16 v15, v15, 0.5, v24
	v_bfi_b32 v27, s1, v26, v25
	v_fma_f16 v1, v13, s4, v1
	v_pk_add_f16 v22, v17, v19
	v_add_f16_sdwa v24, v23, v15 dst_sel:DWORD dst_unused:UNUSED_PAD src0_sel:WORD_1 src1_sel:DWORD
	v_pk_add_f16 v27, v11, v27
	v_add_f16_e32 v13, v23, v1
	v_pk_add_f16 v17, v17, v19 neg_lo:[0,1] neg_hi:[0,1]
	v_alignbit_b32 v19, v11, v23, 16
	v_alignbit_b32 v11, v23, v11, 16
	;; [unrolled: 1-line block ×3, first 2 shown]
	v_pack_b32_f16 v15, v15, v26
	v_pk_add_f16 v1, v11, v1 neg_lo:[0,1] neg_hi:[0,1]
	v_alignbit_b32 v13, v13, v27, 16
	v_pack_b32_f16 v24, v24, v27
	v_pk_add_f16 v15, v19, v15 neg_lo:[0,1] neg_hi:[0,1]
	s_waitcnt lgkmcnt(0)
	s_barrier
	ds_write2_b32 v20, v24, v13 offset0:1 offset1:2
	ds_write2_b32 v20, v17, v15 offset0:3 offset1:4
	ds_write2_b32 v20, v22, v1 offset1:5
	v_pk_add_f16 v1, v14, v18
	v_pk_add_f16 v11, v0, v14
	v_pk_fma_f16 v0, v1, 0.5, v0 op_sel_hi:[1,0,1] neg_lo:[1,0,0] neg_hi:[1,0,0]
	v_pk_add_f16 v1, v14, v18 neg_lo:[0,1] neg_hi:[0,1]
	v_pk_add_f16 v19, v12, v16
	v_pk_fma_f16 v13, v1, s4, v0 op_sel:[0,0,1] op_sel_hi:[1,0,0] neg_lo:[1,0,0] neg_hi:[1,0,0]
	v_pk_fma_f16 v0, v1, s4, v0 op_sel:[0,0,1] op_sel_hi:[1,0,0]
	v_pk_add_f16 v1, v16, v21
	v_pk_add_f16 v11, v11, v18
	v_pk_fma_f16 v1, v1, 0.5, v12 op_sel_hi:[1,0,1] neg_lo:[1,0,0] neg_hi:[1,0,0]
	v_pk_add_f16 v12, v16, v21 neg_lo:[0,1] neg_hi:[0,1]
	v_pk_add_f16 v19, v19, v21
	v_pk_fma_f16 v14, v12, s4, v1 op_sel:[0,0,1] op_sel_hi:[1,0,0]
	v_pk_fma_f16 v1, v12, s4, v1 op_sel:[0,0,1] op_sel_hi:[1,0,0] neg_lo:[1,0,0] neg_hi:[1,0,0]
	v_mul_f16_e32 v15, 0xbaee, v14
	v_pk_mul_f16 v16, v1, s4 op_sel_hi:[1,0]
	v_lshrrev_b32_e32 v12, 16, v1
	v_pk_fma_f16 v17, v14, s0, v16 op_sel:[0,0,1] op_sel_hi:[1,1,0]
	v_pk_fma_f16 v16, v14, s0, v16 op_sel:[0,0,1] op_sel_hi:[1,1,0] neg_lo:[0,0,1] neg_hi:[0,0,1]
	v_lshrrev_b32_e32 v14, 16, v14
	v_mul_f16_e32 v1, -0.5, v1
	v_fma_f16 v12, v12, 0.5, v15
	v_bfi_b32 v18, s1, v17, v16
	v_fma_f16 v1, v14, s4, v1
	v_add_f16_sdwa v15, v13, v12 dst_sel:DWORD dst_unused:UNUSED_PAD src0_sel:WORD_1 src1_sel:DWORD
	v_pk_add_f16 v18, v0, v18
	v_add_f16_e32 v14, v13, v1
	v_alignbit_b32 v14, v14, v18, 16
	v_pack_b32_f16 v15, v15, v18
	ds_write2_b32 v20, v15, v14 offset0:73 offset1:74
	v_alignbit_b32 v14, v0, v13, 16
	v_alignbit_b32 v0, v13, v0, 16
	;; [unrolled: 1-line block ×3, first 2 shown]
	v_pk_add_f16 v23, v11, v19
	v_pack_b32_f16 v12, v12, v17
	v_pk_add_f16 v0, v0, v1 neg_lo:[0,1] neg_hi:[0,1]
	v_pk_add_f16 v11, v11, v19 neg_lo:[0,1] neg_hi:[0,1]
	;; [unrolled: 1-line block ×3, first 2 shown]
	ds_write2_b32 v20, v23, v0 offset0:72 offset1:77
	v_add_u32_e32 v0, -6, v6
	v_cmp_gt_u32_e64 s[0:1], 6, v6
	ds_write2_b32 v20, v11, v12 offset0:75 offset1:76
	v_mov_b32_e32 v1, 0
	v_cndmask_b32_e64 v11, v0, v6, s[0:1]
	v_mul_i32_i24_e32 v0, 5, v11
	v_lshl_add_u64 v[16:17], v[0:1], 2, s[8:9]
	s_waitcnt lgkmcnt(0)
	s_barrier
	global_load_dwordx4 v[12:15], v[16:17], off
	global_load_dword v0, v[16:17], off offset:16
	v_add_u16_e32 v16, 12, v6
	s_movk_i32 s0, 0xab
	v_mul_lo_u16_sdwa v17, v16, s0 dst_sel:DWORD dst_unused:UNUSED_PAD src0_sel:BYTE_0 src1_sel:DWORD
	v_lshrrev_b16_e32 v30, 10, v17
	v_mul_lo_u16_e32 v17, 6, v30
	v_sub_u16_e32 v31, v16, v17
	v_mov_b32_e32 v16, 5
	v_mul_u32_u24_sdwa v16, v31, v16 dst_sel:DWORD dst_unused:UNUSED_PAD src0_sel:BYTE_0 src1_sel:DWORD
	v_lshlrev_b32_e32 v21, 2, v16
	global_load_dwordx4 v[16:19], v21, s[8:9]
	global_load_dword v32, v21, s[8:9] offset:16
	s_movk_i32 s1, 0xffec
	ds_read_b32 v33, v9
	ds_read_b32 v34, v7 offset:528
	v_mad_i32_i24 v36, v6, s1, v20
	ds_read2_b32 v[20:21], v7 offset0:108 offset1:120
	ds_read2_b32 v[22:23], v36 offset0:12 offset1:24
	;; [unrolled: 1-line block ×5, first 2 shown]
	s_waitcnt lgkmcnt(4)
	v_lshrrev_b32_e32 v37, 16, v21
	s_waitcnt lgkmcnt(3)
	v_lshrrev_b32_e32 v44, 16, v23
	;; [unrolled: 2-line block ×5, first 2 shown]
	v_lshrrev_b32_e32 v42, 16, v20
	v_lshrrev_b32_e32 v43, 16, v34
	s_mov_b32 s0, 0xbaee
	v_lshrrev_b32_e32 v35, 16, v33
	v_lshrrev_b32_e32 v38, 16, v22
	v_lshlrev_b32_e32 v11, 2, v11
	s_barrier
	s_waitcnt vmcnt(3)
	v_mul_f16_sdwa v45, v12, v44 dst_sel:DWORD dst_unused:UNUSED_PAD src0_sel:WORD_1 src1_sel:DWORD
	v_fma_f16 v45, v12, v23, v45
	v_mul_f16_sdwa v23, v12, v23 dst_sel:DWORD dst_unused:UNUSED_PAD src0_sel:WORD_1 src1_sel:DWORD
	v_fma_f16 v12, v12, v44, -v23
	v_lshrrev_b32_e32 v23, 16, v25
	v_mul_f16_sdwa v44, v13, v23 dst_sel:DWORD dst_unused:UNUSED_PAD src0_sel:WORD_1 src1_sel:DWORD
	v_fma_f16 v44, v13, v25, v44
	v_mul_f16_sdwa v25, v13, v25 dst_sel:DWORD dst_unused:UNUSED_PAD src0_sel:WORD_1 src1_sel:DWORD
	v_fma_f16 v13, v13, v23, -v25
	v_lshrrev_b32_e32 v23, 16, v27
	;; [unrolled: 5-line block ×3, first 2 shown]
	v_mul_f16_sdwa v27, v15, v23 dst_sel:DWORD dst_unused:UNUSED_PAD src0_sel:WORD_1 src1_sel:DWORD
	v_fma_f16 v27, v15, v29, v27
	v_mul_f16_sdwa v29, v15, v29 dst_sel:DWORD dst_unused:UNUSED_PAD src0_sel:WORD_1 src1_sel:DWORD
	v_fma_f16 v15, v15, v23, -v29
	s_waitcnt vmcnt(2)
	v_mul_f16_sdwa v23, v37, v0 dst_sel:DWORD dst_unused:UNUSED_PAD src0_sel:DWORD src1_sel:WORD_1
	v_fma_f16 v23, v21, v0, v23
	v_mul_f16_sdwa v21, v21, v0 dst_sel:DWORD dst_unused:UNUSED_PAD src0_sel:DWORD src1_sel:WORD_1
	v_fma_f16 v0, v37, v0, -v21
	s_waitcnt vmcnt(1)
	v_mul_f16_sdwa v21, v39, v16 dst_sel:DWORD dst_unused:UNUSED_PAD src0_sel:DWORD src1_sel:WORD_1
	v_fma_f16 v21, v24, v16, v21
	v_mul_f16_sdwa v24, v24, v16 dst_sel:DWORD dst_unused:UNUSED_PAD src0_sel:DWORD src1_sel:WORD_1
	v_fma_f16 v16, v39, v16, -v24
	v_mul_f16_sdwa v24, v40, v17 dst_sel:DWORD dst_unused:UNUSED_PAD src0_sel:DWORD src1_sel:WORD_1
	v_fma_f16 v24, v26, v17, v24
	v_mul_f16_sdwa v26, v26, v17 dst_sel:DWORD dst_unused:UNUSED_PAD src0_sel:DWORD src1_sel:WORD_1
	v_fma_f16 v17, v40, v17, -v26
	;; [unrolled: 4-line block ×4, first 2 shown]
	s_waitcnt vmcnt(0)
	v_mul_f16_sdwa v20, v43, v32 dst_sel:DWORD dst_unused:UNUSED_PAD src0_sel:DWORD src1_sel:WORD_1
	v_fma_f16 v20, v34, v32, v20
	v_mul_f16_sdwa v29, v34, v32 dst_sel:DWORD dst_unused:UNUSED_PAD src0_sel:DWORD src1_sel:WORD_1
	v_add_f16_e32 v34, v44, v27
	v_fma_f16 v29, v43, v32, -v29
	v_add_f16_e32 v32, v33, v44
	v_fma_f16 v33, v34, -0.5, v33
	v_sub_f16_e32 v34, v13, v15
	v_fma_f16 v37, v34, s0, v33
	v_fma_f16 v33, v34, s4, v33
	v_add_f16_e32 v34, v35, v13
	v_add_f16_e32 v13, v13, v15
	v_fma_f16 v13, v13, -0.5, v35
	v_add_f16_e32 v35, v25, v23
	v_fma_f16 v35, v35, -0.5, v45
	v_sub_f16_e32 v39, v14, v0
	v_fma_f16 v40, v39, s0, v35
	v_fma_f16 v35, v39, s4, v35
	v_add_f16_e32 v39, v12, v14
	v_add_f16_e32 v39, v39, v0
	;; [unrolled: 1-line block ×4, first 2 shown]
	v_sub_f16_e32 v15, v44, v27
	v_fma_f16 v0, v0, -0.5, v12
	v_sub_f16_e32 v12, v25, v23
	v_add_f16_e32 v32, v32, v27
	v_fma_f16 v27, v15, s4, v13
	v_fma_f16 v13, v15, s0, v13
	v_add_f16_e32 v15, v45, v25
	v_fma_f16 v14, v12, s4, v0
	v_add_f16_e32 v15, v15, v23
	v_fma_f16 v0, v12, s0, v0
	v_mul_f16_e32 v23, 0xbaee, v14
	v_mul_f16_e32 v14, 0.5, v14
	v_mul_f16_e32 v41, 0xbaee, v0
	v_fma_f16 v14, v40, s4, v14
	v_mul_f16_e32 v0, -0.5, v0
	v_fma_f16 v23, v40, 0.5, v23
	v_add_f16_e32 v40, v27, v14
	v_fma_f16 v0, v35, s4, v0
	v_sub_f16_e32 v14, v27, v14
	v_add_f16_e32 v27, v24, v28
	v_fma_f16 v41, v35, -0.5, v41
	v_add_f16_e32 v35, v13, v0
	v_sub_f16_e32 v0, v13, v0
	v_add_f16_e32 v13, v22, v24
	v_fma_f16 v22, v27, -0.5, v22
	v_sub_f16_e32 v27, v17, v19
	v_add_f16_e32 v12, v32, v15
	v_add_f16_e32 v42, v33, v41
	;; [unrolled: 1-line block ×3, first 2 shown]
	v_sub_f16_e32 v15, v32, v15
	v_sub_f16_e32 v32, v33, v41
	;; [unrolled: 1-line block ×3, first 2 shown]
	v_fma_f16 v34, v27, s0, v22
	v_fma_f16 v22, v27, s4, v22
	v_add_f16_e32 v27, v38, v17
	v_add_f16_e32 v17, v17, v19
	;; [unrolled: 1-line block ×4, first 2 shown]
	v_fma_f16 v17, v17, -0.5, v38
	v_sub_f16_e32 v19, v24, v28
	v_add_f16_e32 v28, v26, v20
	v_fma_f16 v24, v19, s4, v17
	v_fma_f16 v17, v19, s0, v17
	v_add_f16_e32 v19, v21, v26
	v_fma_f16 v21, v28, -0.5, v21
	v_sub_f16_e32 v28, v18, v29
	v_add_f16_e32 v25, v37, v23
	v_sub_f16_e32 v23, v37, v23
	v_fma_f16 v37, v28, s0, v21
	v_fma_f16 v21, v28, s4, v21
	v_add_f16_e32 v28, v16, v18
	v_add_f16_e32 v18, v18, v29
	v_fma_f16 v16, v18, -0.5, v16
	v_sub_f16_e32 v18, v26, v20
	v_add_f16_e32 v19, v19, v20
	v_fma_f16 v20, v18, s4, v16
	v_fma_f16 v16, v18, s0, v16
	v_mul_f16_e32 v38, 0xbaee, v16
	v_mul_f16_e32 v16, -0.5, v16
	v_fma_f16 v16, v21, s4, v16
	v_fma_f16 v38, v21, -0.5, v38
	v_add_f16_e32 v21, v17, v16
	v_sub_f16_e32 v16, v17, v16
	v_mov_b32_e32 v17, 0x90
	v_cmp_lt_u32_e64 s[0:1], 5, v6
	v_pack_b32_f16 v12, v12, v43
	v_pack_b32_f16 v15, v15, v33
	v_cndmask_b32_e64 v17, 0, v17, s[0:1]
	v_add_u32_e32 v17, 0, v17
	v_add3_u32 v11, v17, v11, v10
	v_pack_b32_f16 v17, v25, v40
	ds_write2_b32 v11, v12, v17 offset1:6
	v_pack_b32_f16 v12, v42, v35
	v_mul_f16_e32 v26, 0xbaee, v20
	v_mul_f16_e32 v20, 0.5, v20
	ds_write2_b32 v11, v12, v15 offset0:12 offset1:18
	v_pack_b32_f16 v12, v23, v14
	v_pack_b32_f16 v0, v32, v0
	v_add_f16_e32 v28, v28, v29
	v_fma_f16 v26, v37, 0.5, v26
	v_fma_f16 v20, v37, s4, v20
	s_movk_i32 s4, 0x90
	ds_write2_b32 v11, v12, v0 offset0:24 offset1:30
	v_mov_b32_e32 v11, 2
	v_add_f16_e32 v18, v13, v19
	v_add_f16_e32 v29, v34, v26
	;; [unrolled: 1-line block ×4, first 2 shown]
	v_mad_u32_u24 v0, v30, s4, 0
	v_lshlrev_b32_sdwa v11, v11, v31 dst_sel:DWORD dst_unused:UNUSED_PAD src0_sel:DWORD src1_sel:BYTE_0
	v_add_f16_e32 v39, v22, v38
	v_sub_f16_e32 v13, v13, v19
	v_sub_f16_e32 v19, v34, v26
	;; [unrolled: 1-line block ×3, first 2 shown]
	v_add3_u32 v0, v0, v11, v10
	v_pack_b32_f16 v10, v18, v41
	v_pack_b32_f16 v11, v29, v37
	v_sub_f16_e32 v22, v22, v38
	v_sub_f16_e32 v20, v24, v20
	ds_write2_b32 v0, v10, v11 offset1:6
	v_pack_b32_f16 v10, v39, v21
	v_pack_b32_f16 v11, v13, v26
	ds_write2_b32 v0, v10, v11 offset0:12 offset1:18
	v_pack_b32_f16 v10, v19, v20
	v_pack_b32_f16 v11, v22, v16
	ds_write2_b32 v0, v10, v11 offset0:24 offset1:30
	v_mul_u32_u24_e32 v0, 3, v6
	v_lshlrev_b32_e32 v0, 2, v0
	s_waitcnt lgkmcnt(0)
	s_barrier
	global_load_dwordx3 v[10:12], v0, s[8:9] offset:120
	global_load_dwordx3 v[14:16], v0, s[8:9] offset:264
	;; [unrolled: 1-line block ×3, first 2 shown]
	ds_read2_b32 v[22:23], v7 offset0:60 offset1:72
	ds_read2_b32 v[24:25], v7 offset0:108 offset1:120
	;; [unrolled: 1-line block ×4, first 2 shown]
	ds_read_b32 v0, v9
	ds_read_b32 v9, v7 offset:528
	s_waitcnt lgkmcnt(4)
	v_lshrrev_b32_e32 v13, 16, v25
	s_waitcnt lgkmcnt(3)
	v_lshrrev_b32_e32 v33, 16, v26
	v_lshrrev_b32_e32 v17, 16, v22
	ds_read2_b32 v[30:31], v36 offset0:12 offset1:24
	s_waitcnt lgkmcnt(3)
	v_lshrrev_b32_e32 v21, 16, v29
	s_waitcnt lgkmcnt(1)
	v_lshrrev_b32_e32 v32, 16, v9
	s_waitcnt lgkmcnt(0)
	s_barrier
	s_waitcnt vmcnt(2)
	v_mul_f16_sdwa v34, v10, v33 dst_sel:DWORD dst_unused:UNUSED_PAD src0_sel:WORD_1 src1_sel:DWORD
	v_fma_f16 v34, v10, v26, v34
	v_mul_f16_sdwa v26, v10, v26 dst_sel:DWORD dst_unused:UNUSED_PAD src0_sel:WORD_1 src1_sel:DWORD
	v_fma_f16 v10, v10, v33, -v26
	v_lshrrev_b32_e32 v26, 16, v23
	v_mul_f16_sdwa v33, v11, v26 dst_sel:DWORD dst_unused:UNUSED_PAD src0_sel:WORD_1 src1_sel:DWORD
	v_fma_f16 v33, v11, v23, v33
	v_mul_f16_sdwa v23, v11, v23 dst_sel:DWORD dst_unused:UNUSED_PAD src0_sel:WORD_1 src1_sel:DWORD
	v_fma_f16 v11, v11, v26, -v23
	v_lshrrev_b32_e32 v23, 16, v24
	;; [unrolled: 5-line block ×3, first 2 shown]
	s_waitcnt vmcnt(1)
	v_mul_f16_sdwa v24, v14, v23 dst_sel:DWORD dst_unused:UNUSED_PAD src0_sel:WORD_1 src1_sel:DWORD
	v_fma_f16 v24, v14, v27, v24
	v_mul_f16_sdwa v27, v14, v27 dst_sel:DWORD dst_unused:UNUSED_PAD src0_sel:WORD_1 src1_sel:DWORD
	v_fma_f16 v14, v14, v23, -v27
	v_lshrrev_b32_e32 v23, 16, v28
	v_mul_f16_sdwa v27, v15, v23 dst_sel:DWORD dst_unused:UNUSED_PAD src0_sel:WORD_1 src1_sel:DWORD
	v_fma_f16 v27, v15, v28, v27
	v_mul_f16_sdwa v28, v15, v28 dst_sel:DWORD dst_unused:UNUSED_PAD src0_sel:WORD_1 src1_sel:DWORD
	v_fma_f16 v15, v15, v23, -v28
	v_mul_f16_sdwa v23, v13, v16 dst_sel:DWORD dst_unused:UNUSED_PAD src0_sel:DWORD src1_sel:WORD_1
	v_fma_f16 v23, v25, v16, v23
	v_mul_f16_sdwa v25, v25, v16 dst_sel:DWORD dst_unused:UNUSED_PAD src0_sel:DWORD src1_sel:WORD_1
	v_fma_f16 v13, v13, v16, -v25
	s_waitcnt vmcnt(0)
	v_mul_f16_sdwa v16, v17, v18 dst_sel:DWORD dst_unused:UNUSED_PAD src0_sel:DWORD src1_sel:WORD_1
	v_fma_f16 v16, v22, v18, v16
	v_mul_f16_sdwa v22, v22, v18 dst_sel:DWORD dst_unused:UNUSED_PAD src0_sel:DWORD src1_sel:WORD_1
	v_fma_f16 v17, v17, v18, -v22
	v_mul_f16_sdwa v18, v21, v19 dst_sel:DWORD dst_unused:UNUSED_PAD src0_sel:DWORD src1_sel:WORD_1
	v_mul_f16_sdwa v22, v29, v19 dst_sel:DWORD dst_unused:UNUSED_PAD src0_sel:DWORD src1_sel:WORD_1
	v_fma_f16 v18, v29, v19, v18
	v_fma_f16 v19, v21, v19, -v22
	v_mul_f16_sdwa v21, v32, v20 dst_sel:DWORD dst_unused:UNUSED_PAD src0_sel:DWORD src1_sel:WORD_1
	v_fma_f16 v21, v9, v20, v21
	v_mul_f16_sdwa v9, v9, v20 dst_sel:DWORD dst_unused:UNUSED_PAD src0_sel:DWORD src1_sel:WORD_1
	v_fma_f16 v9, v32, v20, -v9
	v_lshrrev_b32_e32 v20, 16, v0
	v_sub_f16_e32 v22, v0, v33
	v_sub_f16_e32 v11, v20, v11
	;; [unrolled: 1-line block ×5, first 2 shown]
	v_fma_f16 v0, v0, 2.0, -v22
	v_fma_f16 v20, v20, 2.0, -v11
	;; [unrolled: 1-line block ×4, first 2 shown]
	v_lshrrev_b32_e32 v28, 16, v30
	v_fma_f16 v29, v30, 2.0, -v27
	v_lshrrev_b32_e32 v30, 16, v31
	v_sub_f16_e32 v26, v0, v26
	v_sub_f16_e32 v10, v20, v10
	v_add_f16_e32 v12, v22, v12
	v_sub_f16_e32 v25, v11, v25
	v_sub_f16_e32 v15, v28, v15
	;; [unrolled: 1-line block ×8, first 2 shown]
	v_fma_f16 v0, v0, 2.0, -v26
	v_fma_f16 v20, v20, 2.0, -v10
	;; [unrolled: 1-line block ×11, first 2 shown]
	v_sub_f16_e32 v24, v29, v24
	v_sub_f16_e32 v14, v28, v14
	;; [unrolled: 1-line block ×4, first 2 shown]
	v_pack_b32_f16 v0, v0, v20
	v_pack_b32_f16 v11, v22, v11
	v_fma_f16 v29, v29, 2.0, -v24
	v_fma_f16 v28, v28, 2.0, -v14
	v_add_f16_e32 v13, v27, v13
	v_fma_f16 v31, v31, 2.0, -v16
	v_fma_f16 v30, v30, 2.0, -v17
	ds_write2_b32 v7, v0, v11 offset1:36
	v_pack_b32_f16 v0, v26, v10
	v_pack_b32_f16 v10, v12, v25
	v_sub_f16_e32 v23, v15, v23
	v_fma_f16 v27, v27, 2.0, -v13
	v_add_f16_e32 v9, v18, v9
	v_sub_f16_e32 v21, v19, v21
	ds_write2_b32 v7, v0, v10 offset0:72 offset1:108
	v_pack_b32_f16 v0, v29, v28
	v_pack_b32_f16 v7, v31, v30
	v_fma_f16 v15, v15, 2.0, -v23
	v_fma_f16 v18, v18, 2.0, -v9
	;; [unrolled: 1-line block ×3, first 2 shown]
	ds_write_b16 v36, v27 offset:192
	ds_write_b16 v36, v15 offset:194
	;; [unrolled: 1-line block ×6, first 2 shown]
	ds_write2_b32 v36, v0, v7 offset0:12 offset1:24
	ds_write_b16 v36, v18 offset:240
	ds_write_b16 v36, v19 offset:242
	;; [unrolled: 1-line block ×6, first 2 shown]
	s_waitcnt lgkmcnt(0)
	s_barrier
	s_and_saveexec_b64 s[0:1], vcc
	s_cbranch_execz .LBB0_20
; %bb.19:
	v_lshl_add_u32 v12, v6, 2, v8
	v_mul_lo_u32 v0, s3, v4
	v_mul_lo_u32 v7, s2, v5
	v_mad_u64_u32 v[4:5], s[0:1], s2, v4, 0
	ds_read2_b32 v[8:9], v12 offset1:12
	v_add3_u32 v5, v5, v7, v0
	v_lshl_add_u64 v[4:5], v[4:5], 2, s[6:7]
	v_mov_b32_e32 v7, v1
	v_lshl_add_u64 v[2:3], v[2:3], 2, v[4:5]
	v_lshl_add_u64 v[4:5], v[6:7], 2, v[2:3]
	s_waitcnt lgkmcnt(0)
	global_store_dword v[4:5], v8, off
	ds_read2_b32 v[4:5], v12 offset0:24 offset1:36
	v_add_u32_e32 v0, 12, v6
	v_lshl_add_u64 v[10:11], v[0:1], 2, v[2:3]
	v_add_u32_e32 v0, 24, v6
	global_store_dword v[10:11], v9, off
	v_lshl_add_u64 v[8:9], v[0:1], 2, v[2:3]
	s_waitcnt lgkmcnt(0)
	global_store_dword v[8:9], v4, off
	ds_read2_b32 v[8:9], v12 offset0:48 offset1:60
	v_add_u32_e32 v0, 36, v6
	v_lshl_add_u64 v[10:11], v[0:1], 2, v[2:3]
	v_add_u32_e32 v0, 48, v6
	global_store_dword v[10:11], v5, off
	v_lshl_add_u64 v[4:5], v[0:1], 2, v[2:3]
	s_waitcnt lgkmcnt(0)
	global_store_dword v[4:5], v8, off
	ds_read2_b32 v[4:5], v12 offset0:72 offset1:84
	v_add_u32_e32 v0, 60, v6
	v_lshl_add_u64 v[10:11], v[0:1], 2, v[2:3]
	v_add_u32_e32 v0, 0x48, v6
	global_store_dword v[10:11], v9, off
	v_lshl_add_u64 v[8:9], v[0:1], 2, v[2:3]
	s_waitcnt lgkmcnt(0)
	global_store_dword v[8:9], v4, off
	ds_read2_b32 v[8:9], v12 offset0:96 offset1:108
	v_add_u32_e32 v0, 0x54, v6
	v_lshl_add_u64 v[10:11], v[0:1], 2, v[2:3]
	v_add_u32_e32 v0, 0x60, v6
	global_store_dword v[10:11], v5, off
	v_lshl_add_u64 v[4:5], v[0:1], 2, v[2:3]
	s_waitcnt lgkmcnt(0)
	global_store_dword v[4:5], v8, off
	ds_read2_b32 v[4:5], v12 offset0:120 offset1:132
	v_add_u32_e32 v0, 0x6c, v6
	v_lshl_add_u64 v[10:11], v[0:1], 2, v[2:3]
	v_add_u32_e32 v0, 0x78, v6
	global_store_dword v[10:11], v9, off
	v_lshl_add_u64 v[8:9], v[0:1], 2, v[2:3]
	v_add_u32_e32 v0, 0x84, v6
	v_lshl_add_u64 v[0:1], v[0:1], 2, v[2:3]
	s_waitcnt lgkmcnt(0)
	global_store_dword v[8:9], v4, off
	global_store_dword v[0:1], v5, off
.LBB0_20:
	s_endpgm
	.section	.rodata,"a",@progbits
	.p2align	6, 0x0
	.amdhsa_kernel fft_rtc_back_len144_factors_6_6_4_wgs_120_tpt_12_halfLds_half_op_CI_CI_unitstride_sbrr_C2R_dirReg
		.amdhsa_group_segment_fixed_size 0
		.amdhsa_private_segment_fixed_size 0
		.amdhsa_kernarg_size 104
		.amdhsa_user_sgpr_count 2
		.amdhsa_user_sgpr_dispatch_ptr 0
		.amdhsa_user_sgpr_queue_ptr 0
		.amdhsa_user_sgpr_kernarg_segment_ptr 1
		.amdhsa_user_sgpr_dispatch_id 0
		.amdhsa_user_sgpr_kernarg_preload_length 0
		.amdhsa_user_sgpr_kernarg_preload_offset 0
		.amdhsa_user_sgpr_private_segment_size 0
		.amdhsa_uses_dynamic_stack 0
		.amdhsa_enable_private_segment 0
		.amdhsa_system_sgpr_workgroup_id_x 1
		.amdhsa_system_sgpr_workgroup_id_y 0
		.amdhsa_system_sgpr_workgroup_id_z 0
		.amdhsa_system_sgpr_workgroup_info 0
		.amdhsa_system_vgpr_workitem_id 0
		.amdhsa_next_free_vgpr 46
		.amdhsa_next_free_sgpr 28
		.amdhsa_accum_offset 48
		.amdhsa_reserve_vcc 1
		.amdhsa_float_round_mode_32 0
		.amdhsa_float_round_mode_16_64 0
		.amdhsa_float_denorm_mode_32 3
		.amdhsa_float_denorm_mode_16_64 3
		.amdhsa_dx10_clamp 1
		.amdhsa_ieee_mode 1
		.amdhsa_fp16_overflow 0
		.amdhsa_tg_split 0
		.amdhsa_exception_fp_ieee_invalid_op 0
		.amdhsa_exception_fp_denorm_src 0
		.amdhsa_exception_fp_ieee_div_zero 0
		.amdhsa_exception_fp_ieee_overflow 0
		.amdhsa_exception_fp_ieee_underflow 0
		.amdhsa_exception_fp_ieee_inexact 0
		.amdhsa_exception_int_div_zero 0
	.end_amdhsa_kernel
	.text
.Lfunc_end0:
	.size	fft_rtc_back_len144_factors_6_6_4_wgs_120_tpt_12_halfLds_half_op_CI_CI_unitstride_sbrr_C2R_dirReg, .Lfunc_end0-fft_rtc_back_len144_factors_6_6_4_wgs_120_tpt_12_halfLds_half_op_CI_CI_unitstride_sbrr_C2R_dirReg
                                        ; -- End function
	.section	.AMDGPU.csdata,"",@progbits
; Kernel info:
; codeLenInByte = 6140
; NumSgprs: 34
; NumVgprs: 46
; NumAgprs: 0
; TotalNumVgprs: 46
; ScratchSize: 0
; MemoryBound: 0
; FloatMode: 240
; IeeeMode: 1
; LDSByteSize: 0 bytes/workgroup (compile time only)
; SGPRBlocks: 4
; VGPRBlocks: 5
; NumSGPRsForWavesPerEU: 34
; NumVGPRsForWavesPerEU: 46
; AccumOffset: 48
; Occupancy: 8
; WaveLimiterHint : 1
; COMPUTE_PGM_RSRC2:SCRATCH_EN: 0
; COMPUTE_PGM_RSRC2:USER_SGPR: 2
; COMPUTE_PGM_RSRC2:TRAP_HANDLER: 0
; COMPUTE_PGM_RSRC2:TGID_X_EN: 1
; COMPUTE_PGM_RSRC2:TGID_Y_EN: 0
; COMPUTE_PGM_RSRC2:TGID_Z_EN: 0
; COMPUTE_PGM_RSRC2:TIDIG_COMP_CNT: 0
; COMPUTE_PGM_RSRC3_GFX90A:ACCUM_OFFSET: 11
; COMPUTE_PGM_RSRC3_GFX90A:TG_SPLIT: 0
	.text
	.p2alignl 6, 3212836864
	.fill 256, 4, 3212836864
	.type	__hip_cuid_645563542e3ce69c,@object ; @__hip_cuid_645563542e3ce69c
	.section	.bss,"aw",@nobits
	.globl	__hip_cuid_645563542e3ce69c
__hip_cuid_645563542e3ce69c:
	.byte	0                               ; 0x0
	.size	__hip_cuid_645563542e3ce69c, 1

	.ident	"AMD clang version 19.0.0git (https://github.com/RadeonOpenCompute/llvm-project roc-6.4.0 25133 c7fe45cf4b819c5991fe208aaa96edf142730f1d)"
	.section	".note.GNU-stack","",@progbits
	.addrsig
	.addrsig_sym __hip_cuid_645563542e3ce69c
	.amdgpu_metadata
---
amdhsa.kernels:
  - .agpr_count:     0
    .args:
      - .actual_access:  read_only
        .address_space:  global
        .offset:         0
        .size:           8
        .value_kind:     global_buffer
      - .offset:         8
        .size:           8
        .value_kind:     by_value
      - .actual_access:  read_only
        .address_space:  global
        .offset:         16
        .size:           8
        .value_kind:     global_buffer
      - .actual_access:  read_only
        .address_space:  global
        .offset:         24
        .size:           8
        .value_kind:     global_buffer
      - .actual_access:  read_only
        .address_space:  global
        .offset:         32
        .size:           8
        .value_kind:     global_buffer
      - .offset:         40
        .size:           8
        .value_kind:     by_value
      - .actual_access:  read_only
        .address_space:  global
        .offset:         48
        .size:           8
        .value_kind:     global_buffer
      - .actual_access:  read_only
        .address_space:  global
        .offset:         56
        .size:           8
        .value_kind:     global_buffer
      - .offset:         64
        .size:           4
        .value_kind:     by_value
      - .actual_access:  read_only
        .address_space:  global
        .offset:         72
        .size:           8
        .value_kind:     global_buffer
      - .actual_access:  read_only
        .address_space:  global
        .offset:         80
        .size:           8
        .value_kind:     global_buffer
      - .actual_access:  read_only
        .address_space:  global
        .offset:         88
        .size:           8
        .value_kind:     global_buffer
      - .actual_access:  write_only
        .address_space:  global
        .offset:         96
        .size:           8
        .value_kind:     global_buffer
    .group_segment_fixed_size: 0
    .kernarg_segment_align: 8
    .kernarg_segment_size: 104
    .language:       OpenCL C
    .language_version:
      - 2
      - 0
    .max_flat_workgroup_size: 120
    .name:           fft_rtc_back_len144_factors_6_6_4_wgs_120_tpt_12_halfLds_half_op_CI_CI_unitstride_sbrr_C2R_dirReg
    .private_segment_fixed_size: 0
    .sgpr_count:     34
    .sgpr_spill_count: 0
    .symbol:         fft_rtc_back_len144_factors_6_6_4_wgs_120_tpt_12_halfLds_half_op_CI_CI_unitstride_sbrr_C2R_dirReg.kd
    .uniform_work_group_size: 1
    .uses_dynamic_stack: false
    .vgpr_count:     46
    .vgpr_spill_count: 0
    .wavefront_size: 64
amdhsa.target:   amdgcn-amd-amdhsa--gfx950
amdhsa.version:
  - 1
  - 2
...

	.end_amdgpu_metadata
